;; amdgpu-corpus repo=ROCm/rocFFT kind=compiled arch=gfx906 opt=O3
	.text
	.amdgcn_target "amdgcn-amd-amdhsa--gfx906"
	.amdhsa_code_object_version 6
	.protected	bluestein_single_back_len35_dim1_dp_op_CI_CI ; -- Begin function bluestein_single_back_len35_dim1_dp_op_CI_CI
	.globl	bluestein_single_back_len35_dim1_dp_op_CI_CI
	.p2align	8
	.type	bluestein_single_back_len35_dim1_dp_op_CI_CI,@function
bluestein_single_back_len35_dim1_dp_op_CI_CI: ; @bluestein_single_back_len35_dim1_dp_op_CI_CI
; %bb.0:
	v_mul_u32_u24_e32 v1, 0x2493, v0
	s_load_dwordx4 s[12:15], s[4:5], 0x28
	v_lshrrev_b32_e32 v1, 16, v1
	v_mad_u64_u32 v[72:73], s[0:1], s6, 36, v[1:2]
	v_mov_b32_e32 v73, 0
	s_waitcnt lgkmcnt(0)
	v_cmp_gt_u64_e32 vcc, s[12:13], v[72:73]
	s_and_saveexec_b64 s[0:1], vcc
	s_cbranch_execz .LBB0_10
; %bb.1:
	s_load_dwordx4 s[0:3], s[4:5], 0x18
	s_load_dwordx4 s[8:11], s[4:5], 0x0
	v_mul_lo_u16_e32 v1, 7, v1
	v_sub_u16_e32 v99, v0, v1
	v_lshlrev_b32_e32 v102, 4, v99
	s_waitcnt lgkmcnt(0)
	s_load_dwordx4 s[16:19], s[0:1], 0x0
	s_load_dwordx2 s[12:13], s[4:5], 0x38
	s_mov_b32 s4, 0x38e38e39
	v_mov_b32_e32 v60, s9
	s_mov_b32 s21, 0xbfee6f0e
	s_waitcnt lgkmcnt(0)
	v_mad_u64_u32 v[0:1], s[0:1], s18, v72, 0
	v_mad_u64_u32 v[2:3], s[0:1], s16, v99, 0
	v_mad_u64_u32 v[4:5], s[0:1], s19, v72, v[1:2]
	s_mov_b32 s19, 0xbfe2cf23
	v_mad_u64_u32 v[5:6], s[0:1], s17, v99, v[3:4]
	v_mov_b32_e32 v1, v4
	v_lshlrev_b64 v[0:1], 4, v[0:1]
	v_mov_b32_e32 v6, s15
	v_mov_b32_e32 v3, v5
	v_add_co_u32_e32 v4, vcc, s14, v0
	v_addc_co_u32_e32 v5, vcc, v6, v1, vcc
	v_lshlrev_b64 v[0:1], 4, v[2:3]
	s_mul_i32 s0, s17, 0x70
	v_add_co_u32_e32 v0, vcc, v4, v0
	s_mul_hi_u32 s1, s16, 0x70
	v_addc_co_u32_e32 v1, vcc, v5, v1, vcc
	s_add_i32 s0, s1, s0
	s_mul_i32 s1, s16, 0x70
	global_load_dwordx4 v[20:23], v[0:1], off
	v_mov_b32_e32 v2, s0
	v_add_co_u32_e32 v0, vcc, s1, v0
	v_addc_co_u32_e32 v1, vcc, v1, v2, vcc
	v_mov_b32_e32 v3, s0
	v_add_co_u32_e32 v2, vcc, s1, v0
	v_addc_co_u32_e32 v3, vcc, v1, v3, vcc
	global_load_dwordx4 v[16:19], v102, s[8:9]
	global_load_dwordx4 v[8:11], v102, s[8:9] offset:112
	global_load_dwordx4 v[24:27], v[0:1], off
	global_load_dwordx4 v[28:31], v[2:3], off
	v_mov_b32_e32 v0, s0
	v_add_co_u32_e32 v40, vcc, s1, v2
	v_addc_co_u32_e32 v41, vcc, v3, v0, vcc
	global_load_dwordx4 v[12:15], v102, s[8:9] offset:224
	global_load_dwordx4 v[0:3], v102, s[8:9] offset:336
	v_mov_b32_e32 v4, s0
	v_add_co_u32_e32 v42, vcc, s1, v40
	v_addc_co_u32_e32 v43, vcc, v41, v4, vcc
	global_load_dwordx4 v[32:35], v[40:41], off
	global_load_dwordx4 v[4:7], v102, s[8:9] offset:448
	global_load_dwordx4 v[36:39], v[42:43], off
	v_mul_hi_u32 v40, v72, s4
	s_load_dwordx4 s[4:7], s[2:3], 0x0
	v_add_co_u32_e32 v73, vcc, s8, v102
	v_lshrrev_b32_e32 v40, 3, v40
	v_mul_lo_u32 v40, v40, 36
	v_addc_co_u32_e32 v74, vcc, 0, v60, vcc
	s_mov_b32 s16, 0x134454ff
	v_sub_u32_e32 v61, v72, v40
	s_mov_b32 s17, 0x3fee6f0e
	s_mov_b32 s20, s16
	;; [unrolled: 1-line block ×7, first 2 shown]
	v_cmp_gt_u16_e32 vcc, 5, v99
	s_waitcnt vmcnt(8)
	v_mul_f64 v[40:41], v[22:23], v[18:19]
	v_mul_f64 v[42:43], v[20:21], v[18:19]
	s_waitcnt vmcnt(6)
	v_mul_f64 v[44:45], v[26:27], v[10:11]
	v_mul_f64 v[46:47], v[24:25], v[10:11]
	s_waitcnt vmcnt(4)
	v_mul_f64 v[48:49], v[30:31], v[14:15]
	v_mul_f64 v[50:51], v[28:29], v[14:15]
	v_fma_f64 v[20:21], v[20:21], v[16:17], v[40:41]
	v_fma_f64 v[22:23], v[22:23], v[16:17], -v[42:43]
	v_fma_f64 v[24:25], v[24:25], v[8:9], v[44:45]
	s_waitcnt vmcnt(2)
	v_mul_f64 v[52:53], v[34:35], v[2:3]
	v_mul_f64 v[54:55], v[32:33], v[2:3]
	s_waitcnt vmcnt(0)
	v_mul_f64 v[56:57], v[38:39], v[6:7]
	v_mul_f64 v[58:59], v[36:37], v[6:7]
	v_fma_f64 v[26:27], v[26:27], v[8:9], -v[46:47]
	v_fma_f64 v[28:29], v[28:29], v[12:13], v[48:49]
	v_fma_f64 v[30:31], v[30:31], v[12:13], -v[50:51]
	v_mul_u32_u24_e32 v40, 35, v61
	v_fma_f64 v[32:33], v[32:33], v[0:1], v[52:53]
	v_fma_f64 v[34:35], v[34:35], v[0:1], -v[54:55]
	v_fma_f64 v[36:37], v[36:37], v[4:5], v[56:57]
	v_fma_f64 v[38:39], v[38:39], v[4:5], -v[58:59]
	v_lshlrev_b32_e32 v101, 4, v40
	v_add_u32_e32 v100, v102, v101
	ds_write_b128 v100, v[20:23]
	ds_write_b128 v100, v[24:27] offset:112
	ds_write_b128 v100, v[28:31] offset:224
	;; [unrolled: 1-line block ×4, first 2 shown]
	s_waitcnt lgkmcnt(0)
	s_barrier
	ds_read_b128 v[20:23], v100
	ds_read_b128 v[24:27], v100 offset:112
	ds_read_b128 v[28:31], v100 offset:224
	;; [unrolled: 1-line block ×4, first 2 shown]
	s_waitcnt lgkmcnt(0)
	v_add_f64 v[40:41], v[20:21], v[24:25]
	v_add_f64 v[44:45], v[24:25], -v[28:29]
	v_add_f64 v[42:43], v[28:29], v[32:33]
	v_add_f64 v[50:51], v[36:37], -v[32:33]
	v_add_f64 v[52:53], v[24:25], v[36:37]
	v_add_f64 v[60:61], v[30:31], v[34:35]
	;; [unrolled: 1-line block ×3, first 2 shown]
	v_add_f64 v[46:47], v[26:27], -v[38:39]
	v_add_f64 v[48:49], v[30:31], -v[34:35]
	;; [unrolled: 1-line block ×4, first 2 shown]
	v_add_f64 v[58:59], v[22:23], v[26:27]
	v_add_f64 v[24:25], v[24:25], -v[36:37]
	v_add_f64 v[62:63], v[28:29], -v[32:33]
	v_fma_f64 v[42:43], v[42:43], -0.5, v[20:21]
	v_add_f64 v[28:29], v[40:41], v[28:29]
	v_add_f64 v[40:41], v[44:45], v[50:51]
	v_fma_f64 v[20:21], v[52:53], -0.5, v[20:21]
	v_fma_f64 v[44:45], v[60:61], -0.5, v[22:23]
	;; [unrolled: 1-line block ×3, first 2 shown]
	v_add_f64 v[64:65], v[26:27], -v[30:31]
	v_add_f64 v[66:67], v[38:39], -v[34:35]
	;; [unrolled: 1-line block ×4, first 2 shown]
	v_add_f64 v[50:51], v[54:55], v[56:57]
	v_fma_f64 v[52:53], v[46:47], s[16:17], v[42:43]
	v_add_f64 v[30:31], v[58:59], v[30:31]
	v_add_f64 v[28:29], v[28:29], v[32:33]
	v_fma_f64 v[32:33], v[46:47], s[20:21], v[42:43]
	v_fma_f64 v[42:43], v[48:49], s[20:21], v[20:21]
	;; [unrolled: 1-line block ×8, first 2 shown]
	v_add_f64 v[44:45], v[28:29], v[36:37]
	v_fma_f64 v[28:29], v[48:49], s[18:19], v[32:33]
	v_fma_f64 v[32:33], v[46:47], s[0:1], v[42:43]
	v_fma_f64 v[20:21], v[46:47], s[18:19], v[20:21]
	v_add_f64 v[30:31], v[30:31], v[34:35]
	v_fma_f64 v[34:35], v[62:63], s[18:19], v[54:55]
	v_add_f64 v[36:37], v[64:65], v[66:67]
	v_fma_f64 v[42:43], v[62:63], s[0:1], v[56:57]
	v_fma_f64 v[54:55], v[24:25], s[18:19], v[58:59]
	v_add_f64 v[26:27], v[26:27], v[70:71]
	v_fma_f64 v[22:23], v[24:25], s[0:1], v[22:23]
	v_fma_f64 v[48:49], v[40:41], s[14:15], v[52:53]
	;; [unrolled: 1-line block ×5, first 2 shown]
	v_add_f64 v[46:47], v[30:31], v[38:39]
	v_fma_f64 v[50:51], v[36:37], s[14:15], v[34:35]
	v_fma_f64 v[62:63], v[36:37], s[14:15], v[42:43]
	v_fma_f64 v[54:55], v[26:27], s[14:15], v[54:55]
	v_fma_f64 v[58:59], v[26:27], s[14:15], v[22:23]
	v_mul_lo_u16_e32 v20, 5, v99
	v_lshl_add_u32 v103, v20, 4, v101
	s_barrier
	ds_write_b128 v103, v[44:47]
	ds_write_b128 v103, v[48:51] offset:16
	ds_write_b128 v103, v[52:55] offset:32
	;; [unrolled: 1-line block ×4, first 2 shown]
	s_waitcnt lgkmcnt(0)
	s_barrier
	s_waitcnt lgkmcnt(0)
                                        ; implicit-def: $vgpr64_vgpr65
                                        ; implicit-def: $vgpr68_vgpr69
	s_and_saveexec_b64 s[0:1], vcc
	s_cbranch_execz .LBB0_3
; %bb.2:
	ds_read_b128 v[44:47], v100
	ds_read_b128 v[48:51], v100 offset:80
	ds_read_b128 v[52:55], v100 offset:160
	;; [unrolled: 1-line block ×6, first 2 shown]
.LBB0_3:
	s_or_b64 exec, exec, s[0:1]
	v_add_u32_e32 v20, -5, v99
	v_cndmask_b32_e32 v20, v20, v99, vcc
	v_mul_hi_i32_i24_e32 v21, 6, v20
	v_mul_i32_i24_e32 v20, 6, v20
	v_lshlrev_b64 v[20:21], 4, v[20:21]
	v_mov_b32_e32 v22, s11
	v_add_co_u32_e64 v75, s[0:1], s10, v20
	v_addc_co_u32_e64 v76, s[0:1], v22, v21, s[0:1]
	global_load_dwordx4 v[28:31], v[75:76], off
	global_load_dwordx4 v[32:35], v[75:76], off offset:16
	global_load_dwordx4 v[24:27], v[75:76], off offset:32
	;; [unrolled: 1-line block ×5, first 2 shown]
	s_mov_b32 s14, 0x37e14327
	s_mov_b32 s16, 0xe976ee23
	;; [unrolled: 1-line block ×16, first 2 shown]
	s_waitcnt vmcnt(5) lgkmcnt(5)
	v_mul_f64 v[75:76], v[50:51], v[30:31]
	v_mul_f64 v[77:78], v[48:49], v[30:31]
	s_waitcnt vmcnt(4) lgkmcnt(4)
	v_mul_f64 v[79:80], v[54:55], v[34:35]
	v_mul_f64 v[81:82], v[52:53], v[34:35]
	;; [unrolled: 3-line block ×3, first 2 shown]
	s_waitcnt vmcnt(0)
	v_mul_f64 v[95:96], v[66:67], v[42:43]
	v_mul_f64 v[97:98], v[64:65], v[42:43]
	;; [unrolled: 1-line block ×6, first 2 shown]
	v_fma_f64 v[48:49], v[48:49], v[28:29], -v[75:76]
	v_fma_f64 v[50:51], v[50:51], v[28:29], v[77:78]
	v_fma_f64 v[52:53], v[52:53], v[32:33], -v[79:80]
	v_fma_f64 v[54:55], v[54:55], v[32:33], v[81:82]
	;; [unrolled: 2-line block ×6, first 2 shown]
	v_add_f64 v[75:76], v[48:49], v[68:69]
	v_add_f64 v[77:78], v[50:51], v[70:71]
	v_add_f64 v[48:49], v[48:49], -v[68:69]
	v_add_f64 v[50:51], v[50:51], -v[70:71]
	v_add_f64 v[68:69], v[52:53], v[64:65]
	v_add_f64 v[70:71], v[54:55], v[66:67]
	v_add_f64 v[52:53], v[52:53], -v[64:65]
	v_add_f64 v[54:55], v[54:55], -v[66:67]
	v_add_f64 v[66:67], v[58:59], v[62:63]
	v_add_f64 v[79:80], v[60:61], -v[56:57]
	v_add_f64 v[62:63], v[62:63], -v[58:59]
	v_add_f64 v[64:65], v[56:57], v[60:61]
	v_add_f64 v[81:82], v[68:69], v[75:76]
	;; [unrolled: 1-line block ×3, first 2 shown]
	v_add_f64 v[58:59], v[70:71], -v[77:78]
	v_add_f64 v[56:57], v[68:69], -v[75:76]
	;; [unrolled: 1-line block ×4, first 2 shown]
	v_add_f64 v[85:86], v[62:63], v[54:55]
	v_add_f64 v[89:90], v[62:63], -v[54:55]
	v_add_f64 v[75:76], v[75:76], -v[64:65]
	;; [unrolled: 1-line block ×3, first 2 shown]
	v_add_f64 v[68:69], v[79:80], v[52:53]
	v_add_f64 v[52:53], v[52:53], -v[48:49]
	v_add_f64 v[54:55], v[54:55], -v[50:51]
	v_add_f64 v[64:65], v[64:65], v[81:82]
	v_add_f64 v[95:96], v[66:67], v[83:84]
	v_add_f64 v[91:92], v[48:49], -v[79:80]
	v_add_f64 v[93:94], v[50:51], -v[62:63]
	v_add_f64 v[81:82], v[85:86], v[50:51]
	v_mul_f64 v[50:51], v[77:78], s[14:15]
	v_mul_f64 v[77:78], v[87:88], s[16:17]
	;; [unrolled: 1-line block ×3, first 2 shown]
	v_add_f64 v[70:71], v[66:67], -v[70:71]
	v_add_f64 v[79:80], v[68:69], v[48:49]
	v_mul_f64 v[48:49], v[75:76], s[14:15]
	v_mul_f64 v[83:84], v[52:53], s[18:19]
	;; [unrolled: 1-line block ×3, first 2 shown]
	v_add_f64 v[52:53], v[44:45], v[64:65]
	v_add_f64 v[54:55], v[46:47], v[95:96]
	v_fma_f64 v[68:69], v[91:92], s[22:23], v[77:78]
	v_fma_f64 v[75:76], v[93:94], s[22:23], v[62:63]
	s_mov_b32 s23, 0xbfd5d0dc
	v_fma_f64 v[44:45], v[56:57], s[10:11], -v[48:49]
	v_fma_f64 v[46:47], v[58:59], s[10:11], -v[50:51]
	;; [unrolled: 1-line block ×4, first 2 shown]
	v_fma_f64 v[91:92], v[64:65], s[20:21], v[52:53]
	v_fma_f64 v[95:96], v[95:96], s[20:21], v[54:55]
	;; [unrolled: 1-line block ×8, first 2 shown]
	v_add_f64 v[89:90], v[44:45], v[91:92]
	v_add_f64 v[97:98], v[46:47], v[95:96]
	;; [unrolled: 1-line block ×4, first 2 shown]
	v_add_f64 v[44:45], v[89:90], -v[85:86]
	v_add_f64 v[46:47], v[93:94], v[97:98]
	v_add_f64 v[48:49], v[75:76], -v[64:65]
	v_add_f64 v[50:51], v[68:69], v[87:88]
	s_and_saveexec_b64 s[14:15], vcc
	s_cbranch_execz .LBB0_5
; %bb.4:
	s_mov_b32 s11, 0x3fe77f67
	v_mul_f64 v[70:71], v[70:71], s[0:1]
	v_mul_f64 v[58:59], v[58:59], s[10:11]
	;; [unrolled: 1-line block ×6, first 2 shown]
	v_add_f64 v[77:78], v[83:84], -v[77:78]
	v_add_f64 v[62:63], v[66:67], -v[62:63]
	ds_write_b128 v100, v[52:55]
	v_add_f64 v[58:59], v[58:59], -v[70:71]
	v_lshl_add_u32 v52, v99, 4, v101
	v_add_f64 v[56:57], v[56:57], -v[60:61]
	v_add_f64 v[60:61], v[64:65], v[75:76]
	v_add_f64 v[70:71], v[79:80], v[77:78]
	;; [unrolled: 1-line block ×3, first 2 shown]
	v_add_f64 v[62:63], v[87:88], -v[68:69]
	v_add_f64 v[77:78], v[58:59], v[95:96]
	v_add_f64 v[58:59], v[97:98], -v[93:94]
	v_add_f64 v[81:82], v[56:57], v[91:92]
	v_add_f64 v[56:57], v[85:86], v[89:90]
	v_add_f64 v[66:67], v[77:78], -v[70:71]
	v_add_f64 v[70:71], v[70:71], v[77:78]
	v_add_f64 v[68:69], v[81:82], -v[79:80]
	v_add_f64 v[64:65], v[79:80], v[81:82]
	ds_write_b128 v52, v[44:47] offset:400
	ds_write_b128 v52, v[60:63] offset:80
	;; [unrolled: 1-line block ×6, first 2 shown]
.LBB0_5:
	s_or_b64 exec, exec, s[14:15]
	s_waitcnt lgkmcnt(0)
	s_barrier
	global_load_dwordx4 v[52:55], v[73:74], off offset:560
	s_add_u32 s0, s8, 0x230
	s_addc_u32 s1, s9, 0
	global_load_dwordx4 v[56:59], v102, s[0:1] offset:112
	global_load_dwordx4 v[60:63], v102, s[0:1] offset:224
	;; [unrolled: 1-line block ×4, first 2 shown]
	ds_read_b128 v[73:76], v100
	ds_read_b128 v[77:80], v100 offset:112
	ds_read_b128 v[81:84], v100 offset:224
	;; [unrolled: 1-line block ×4, first 2 shown]
	s_mov_b32 s2, 0x134454ff
	s_mov_b32 s3, 0xbfee6f0e
	;; [unrolled: 1-line block ×10, first 2 shown]
	s_waitcnt vmcnt(3) lgkmcnt(3)
	v_mul_f64 v[95:96], v[79:80], v[58:59]
	v_mul_f64 v[93:94], v[75:76], v[54:55]
	;; [unrolled: 1-line block ×4, first 2 shown]
	s_waitcnt vmcnt(2) lgkmcnt(2)
	v_mul_f64 v[97:98], v[83:84], v[62:63]
	v_mul_f64 v[62:63], v[81:82], v[62:63]
	s_waitcnt vmcnt(1) lgkmcnt(1)
	v_mul_f64 v[104:105], v[87:88], v[66:67]
	v_mul_f64 v[66:67], v[85:86], v[66:67]
	;; [unrolled: 3-line block ×3, first 2 shown]
	v_fma_f64 v[73:74], v[73:74], v[52:53], -v[93:94]
	v_fma_f64 v[75:76], v[75:76], v[52:53], v[54:55]
	v_fma_f64 v[52:53], v[77:78], v[56:57], -v[95:96]
	v_fma_f64 v[54:55], v[79:80], v[56:57], v[58:59]
	;; [unrolled: 2-line block ×5, first 2 shown]
	ds_write_b128 v100, v[73:76]
	ds_write_b128 v100, v[52:55] offset:112
	ds_write_b128 v100, v[56:59] offset:224
	;; [unrolled: 1-line block ×4, first 2 shown]
	s_waitcnt lgkmcnt(0)
	s_barrier
	ds_read_b128 v[52:55], v100
	ds_read_b128 v[56:59], v100 offset:112
	ds_read_b128 v[60:63], v100 offset:224
	ds_read_b128 v[64:67], v100 offset:336
	ds_read_b128 v[68:71], v100 offset:448
	s_waitcnt lgkmcnt(0)
	v_add_f64 v[73:74], v[52:53], v[56:57]
	v_add_f64 v[81:82], v[56:57], -v[60:61]
	v_add_f64 v[75:76], v[60:61], v[64:65]
	v_add_f64 v[83:84], v[68:69], -v[64:65]
	v_add_f64 v[85:86], v[56:57], v[68:69]
	v_add_f64 v[91:92], v[54:55], v[58:59]
	;; [unrolled: 1-line block ×4, first 2 shown]
	v_add_f64 v[77:78], v[58:59], -v[70:71]
	v_add_f64 v[79:80], v[62:63], -v[66:67]
	;; [unrolled: 1-line block ×9, first 2 shown]
	v_add_f64 v[60:61], v[73:74], v[60:61]
	v_fma_f64 v[73:74], v[75:76], -0.5, v[52:53]
	v_add_f64 v[75:76], v[81:82], v[83:84]
	v_fma_f64 v[52:53], v[85:86], -0.5, v[52:53]
	v_add_f64 v[62:63], v[91:92], v[62:63]
	v_fma_f64 v[83:84], v[93:94], -0.5, v[54:55]
	v_fma_f64 v[54:55], v[106:107], -0.5, v[54:55]
	v_add_f64 v[104:105], v[70:71], -v[66:67]
	v_add_f64 v[81:82], v[87:88], v[89:90]
	v_add_f64 v[87:88], v[58:59], v[108:109]
	;; [unrolled: 1-line block ×3, first 2 shown]
	v_fma_f64 v[60:61], v[77:78], s[2:3], v[73:74]
	v_fma_f64 v[64:65], v[77:78], s[14:15], v[73:74]
	;; [unrolled: 1-line block ×4, first 2 shown]
	v_add_f64 v[62:63], v[62:63], v[66:67]
	v_fma_f64 v[66:67], v[56:57], s[14:15], v[83:84]
	v_fma_f64 v[83:84], v[56:57], s[2:3], v[83:84]
	;; [unrolled: 1-line block ×4, first 2 shown]
	v_add_f64 v[85:86], v[97:98], v[104:105]
	v_add_f64 v[52:53], v[58:59], v[68:69]
	v_fma_f64 v[58:59], v[79:80], s[0:1], v[60:61]
	v_fma_f64 v[60:61], v[79:80], s[10:11], v[64:65]
	;; [unrolled: 1-line block ×4, first 2 shown]
	v_add_f64 v[54:55], v[62:63], v[70:71]
	v_fma_f64 v[62:63], v[95:96], s[10:11], v[66:67]
	v_fma_f64 v[66:67], v[56:57], s[10:11], v[91:92]
	;; [unrolled: 1-line block ×12, first 2 shown]
	s_barrier
	ds_write_b128 v103, v[52:55]
	ds_write_b128 v103, v[56:59] offset:16
	ds_write_b128 v103, v[64:67] offset:32
	;; [unrolled: 1-line block ×4, first 2 shown]
	s_waitcnt lgkmcnt(0)
	s_barrier
	s_and_saveexec_b64 s[0:1], vcc
	s_cbranch_execz .LBB0_7
; %bb.6:
	ds_read_b128 v[52:55], v100
	ds_read_b128 v[56:59], v100 offset:80
	ds_read_b128 v[64:67], v100 offset:160
	;; [unrolled: 1-line block ×6, first 2 shown]
.LBB0_7:
	s_or_b64 exec, exec, s[0:1]
	s_and_saveexec_b64 s[0:1], vcc
	s_cbranch_execz .LBB0_9
; %bb.8:
	s_waitcnt lgkmcnt(5)
	v_mul_f64 v[73:74], v[30:31], v[58:59]
	s_waitcnt lgkmcnt(0)
	v_mul_f64 v[75:76], v[38:39], v[50:51]
	v_mul_f64 v[77:78], v[22:23], v[70:71]
	;; [unrolled: 1-line block ×9, first 2 shown]
	v_fma_f64 v[77:78], v[20:21], v[68:69], v[77:78]
	v_fma_f64 v[79:80], v[24:25], v[60:61], v[79:80]
	;; [unrolled: 1-line block ×4, first 2 shown]
	v_fma_f64 v[38:39], v[36:37], v[50:51], -v[38:39]
	v_fma_f64 v[30:31], v[28:29], v[58:59], -v[30:31]
	;; [unrolled: 1-line block ×4, first 2 shown]
	v_mul_f64 v[26:27], v[26:27], v[60:61]
	v_mul_f64 v[22:23], v[22:23], v[68:69]
	v_fma_f64 v[28:29], v[28:29], v[56:57], v[73:74]
	v_fma_f64 v[34:35], v[36:37], v[48:49], v[75:76]
	v_add_f64 v[36:37], v[77:78], -v[79:80]
	v_add_f64 v[42:43], v[64:65], -v[44:45]
	v_add_f64 v[46:47], v[30:31], v[38:39]
	v_add_f64 v[48:49], v[32:33], v[40:41]
	v_fma_f64 v[24:25], v[24:25], v[62:63], -v[26:27]
	v_fma_f64 v[20:21], v[20:21], v[70:71], -v[22:23]
	s_mov_b32 s8, 0xe976ee23
	v_add_f64 v[26:27], v[28:29], -v[34:35]
	s_mov_b32 s9, 0x3fe11646
	v_add_f64 v[22:23], v[36:37], -v[42:43]
	v_add_f64 v[28:29], v[28:29], v[34:35]
	v_add_f64 v[50:51], v[48:49], v[46:47]
	;; [unrolled: 1-line block ×4, first 2 shown]
	s_mov_b32 s10, 0x37e14327
	v_add_f64 v[58:59], v[26:27], -v[36:37]
	s_mov_b32 s11, 0x3fe948f6
	v_mul_f64 v[60:61], v[22:23], s[8:9]
	v_add_f64 v[22:23], v[36:37], v[42:43]
	v_add_f64 v[64:65], v[79:80], v[77:78]
	v_add_f64 v[24:25], v[20:21], -v[24:25]
	v_add_f64 v[36:37], v[56:57], v[50:51]
	v_add_f64 v[50:51], v[46:47], -v[56:57]
	v_add_f64 v[32:33], v[32:33], -v[40:41]
	s_mov_b32 s14, 0xaaaaaaaa
	s_mov_b32 s16, 0x36b3c0b5
	v_add_f64 v[62:63], v[22:23], v[26:27]
	s_mov_b32 s15, 0xbff2aaaa
	s_mov_b32 s17, 0x3fac98ee
	v_add_f64 v[22:23], v[54:55], v[36:37]
	v_mul_f64 v[50:51], v[50:51], s[10:11]
	v_add_f64 v[54:55], v[56:57], -v[48:49]
	v_add_f64 v[56:57], v[34:35], v[28:29]
	v_add_f64 v[30:31], v[30:31], -v[38:39]
	v_add_f64 v[38:39], v[24:25], -v[32:33]
	;; [unrolled: 1-line block ×4, first 2 shown]
	v_fma_f64 v[36:37], v[36:37], s[14:15], v[22:23]
	s_mov_b32 s3, 0xbfd5d0dc
	v_fma_f64 v[20:21], v[54:55], s[16:17], v[50:51]
	v_add_f64 v[40:41], v[64:65], v[56:57]
	v_add_f64 v[56:57], v[28:29], -v[64:65]
	v_add_f64 v[48:49], v[32:33], -v[30:31]
	v_mul_f64 v[38:39], v[38:39], s[8:9]
	s_mov_b32 s8, 0x429ad128
	s_mov_b32 s9, 0xbfebfeb5
	v_mul_f64 v[70:71], v[42:43], s[8:9]
	v_add_f64 v[66:67], v[20:21], v[36:37]
	v_add_f64 v[20:21], v[52:53], v[40:41]
	v_add_f64 v[52:53], v[64:65], -v[34:35]
	v_mul_f64 v[56:57], v[56:57], s[10:11]
	v_add_f64 v[64:65], v[30:31], -v[24:25]
	v_add_f64 v[24:25], v[24:25], v[32:33]
	s_mov_b32 s11, 0xbfe77f67
	s_mov_b32 s10, 0x5476071b
	v_add_f64 v[28:29], v[34:35], -v[28:29]
	v_fma_f64 v[34:35], v[46:47], s[10:11], -v[50:51]
	v_mul_f64 v[50:51], v[48:49], s[8:9]
	v_mul_f64 v[54:55], v[54:55], s[16:17]
	;; [unrolled: 1-line block ×3, first 2 shown]
	s_mov_b32 s2, 0xb247c609
	v_fma_f64 v[44:45], v[58:59], s[2:3], v[60:61]
	v_fma_f64 v[40:41], v[40:41], s[14:15], v[20:21]
	;; [unrolled: 1-line block ×4, first 2 shown]
	s_mov_b32 s3, 0x3fd5d0dc
	v_add_f64 v[24:25], v[24:25], v[30:31]
	v_fma_f64 v[32:33], v[58:59], s[2:3], -v[70:71]
	v_fma_f64 v[56:57], v[28:29], s[10:11], -v[56:57]
	s_mov_b32 s11, 0x3fe77f67
	v_fma_f64 v[30:31], v[64:65], s[2:3], -v[50:51]
	v_fma_f64 v[46:47], v[46:47], s[10:11], -v[54:55]
	;; [unrolled: 1-line block ×3, first 2 shown]
	v_add_f64 v[54:55], v[34:35], v[36:37]
	v_fma_f64 v[28:29], v[28:29], s[10:11], -v[68:69]
	v_fma_f64 v[34:35], v[48:49], s[8:9], -v[38:39]
	s_mov_b32 s18, 0x37c3f68c
	s_mov_b32 s19, 0xbfdc38aa
	v_fma_f64 v[44:45], v[62:63], s[18:19], v[44:45]
	v_add_f64 v[48:49], v[52:53], v[40:41]
	v_fma_f64 v[50:51], v[24:25], s[18:19], v[73:74]
	v_fma_f64 v[32:33], v[62:63], s[18:19], v[32:33]
	v_add_f64 v[52:53], v[56:57], v[40:41]
	v_fma_f64 v[56:57], v[24:25], s[18:19], v[30:31]
	v_add_f64 v[36:37], v[46:47], v[36:37]
	;; [unrolled: 2-line block ×4, first 2 shown]
	v_add_f64 v[46:47], v[66:67], -v[44:45]
	v_add_f64 v[44:45], v[50:51], v[48:49]
	v_add_f64 v[42:43], v[54:55], -v[32:33]
	v_add_f64 v[40:41], v[56:57], v[52:53]
	;; [unrolled: 2-line block ×4, first 2 shown]
	v_add_f64 v[32:33], v[24:25], v[28:29]
	v_add_f64 v[28:29], v[52:53], -v[56:57]
	v_add_f64 v[24:25], v[48:49], -v[50:51]
	ds_write_b128 v100, v[20:23]
	v_lshl_add_u32 v20, v99, 4, v101
	ds_write_b128 v20, v[44:47] offset:80
	ds_write_b128 v20, v[40:43] offset:160
	;; [unrolled: 1-line block ×6, first 2 shown]
.LBB0_9:
	s_or_b64 exec, exec, s[0:1]
	s_waitcnt lgkmcnt(0)
	s_barrier
	ds_read_b128 v[20:23], v100
	ds_read_b128 v[24:27], v100 offset:112
	v_mad_u64_u32 v[28:29], s[0:1], s6, v72, 0
	s_mul_i32 s2, s5, 0x70
	s_waitcnt lgkmcnt(1)
	v_mul_f64 v[30:31], v[18:19], v[22:23]
	v_mul_f64 v[18:19], v[18:19], v[20:21]
	s_mul_hi_u32 s3, s4, 0x70
	s_add_i32 s2, s3, s2
	s_mul_i32 s3, s4, 0x70
	v_mad_u64_u32 v[32:33], s[0:1], s7, v72, v[29:30]
	v_mad_u64_u32 v[33:34], s[0:1], s4, v99, 0
	v_fma_f64 v[20:21], v[16:17], v[20:21], v[30:31]
	v_fma_f64 v[18:19], v[16:17], v[22:23], -v[18:19]
	v_mov_b32_e32 v16, v34
	v_mad_u64_u32 v[22:23], s[0:1], s5, v99, v[16:17]
	s_mov_b32 s0, 0x1d41d41d
	s_mov_b32 s1, 0x3f9d41d4
	v_mov_b32_e32 v34, v22
	s_waitcnt lgkmcnt(0)
	v_mul_f64 v[22:23], v[10:11], v[26:27]
	v_mul_f64 v[10:11], v[10:11], v[24:25]
	v_mov_b32_e32 v29, v32
	v_mul_f64 v[16:17], v[20:21], s[0:1]
	v_mul_f64 v[18:19], v[18:19], s[0:1]
	v_lshlrev_b64 v[20:21], 4, v[28:29]
	v_mov_b32_e32 v28, s13
	v_add_co_u32_e32 v29, vcc, s12, v20
	v_fma_f64 v[22:23], v[8:9], v[24:25], v[22:23]
	v_fma_f64 v[24:25], v[8:9], v[26:27], -v[10:11]
	ds_read_b128 v[8:11], v100 offset:224
	v_addc_co_u32_e32 v28, vcc, v28, v21, vcc
	v_lshlrev_b64 v[20:21], 4, v[33:34]
	v_mov_b32_e32 v30, s2
	v_add_co_u32_e32 v26, vcc, v29, v20
	v_addc_co_u32_e32 v27, vcc, v28, v21, vcc
	global_store_dwordx4 v[26:27], v[16:19], off
	v_add_co_u32_e32 v26, vcc, s3, v26
	v_mul_f64 v[16:17], v[22:23], s[0:1]
	ds_read_b128 v[20:23], v100 offset:336
	s_waitcnt lgkmcnt(1)
	v_mul_f64 v[28:29], v[14:15], v[10:11]
	v_mul_f64 v[14:15], v[14:15], v[8:9]
	;; [unrolled: 1-line block ×3, first 2 shown]
	v_addc_co_u32_e32 v27, vcc, v27, v30, vcc
	v_fma_f64 v[24:25], v[12:13], v[8:9], v[28:29]
	v_fma_f64 v[14:15], v[12:13], v[10:11], -v[14:15]
	ds_read_b128 v[8:11], v100 offset:448
	s_waitcnt lgkmcnt(1)
	v_mul_f64 v[28:29], v[2:3], v[22:23]
	v_mul_f64 v[2:3], v[2:3], v[20:21]
	global_store_dwordx4 v[26:27], v[16:19], off
	s_waitcnt lgkmcnt(0)
	v_mul_f64 v[30:31], v[6:7], v[10:11]
	v_mul_f64 v[6:7], v[6:7], v[8:9]
	;; [unrolled: 1-line block ×4, first 2 shown]
	v_fma_f64 v[16:17], v[0:1], v[20:21], v[28:29]
	v_fma_f64 v[2:3], v[0:1], v[22:23], -v[2:3]
	v_mov_b32_e32 v18, s2
	v_fma_f64 v[8:9], v[4:5], v[8:9], v[30:31]
	v_fma_f64 v[6:7], v[4:5], v[10:11], -v[6:7]
	v_add_co_u32_e32 v10, vcc, s3, v26
	v_mul_f64 v[0:1], v[16:17], s[0:1]
	v_mul_f64 v[2:3], v[2:3], s[0:1]
	v_addc_co_u32_e32 v11, vcc, v27, v18, vcc
	v_mul_f64 v[4:5], v[8:9], s[0:1]
	v_mul_f64 v[6:7], v[6:7], s[0:1]
	global_store_dwordx4 v[10:11], v[12:15], off
	v_add_co_u32_e32 v8, vcc, s3, v10
	v_mov_b32_e32 v12, s2
	v_addc_co_u32_e32 v9, vcc, v11, v12, vcc
	global_store_dwordx4 v[8:9], v[0:3], off
	s_nop 0
	v_mov_b32_e32 v1, s2
	v_add_co_u32_e32 v0, vcc, s3, v8
	v_addc_co_u32_e32 v1, vcc, v9, v1, vcc
	global_store_dwordx4 v[0:1], v[4:7], off
.LBB0_10:
	s_endpgm
	.section	.rodata,"a",@progbits
	.p2align	6, 0x0
	.amdhsa_kernel bluestein_single_back_len35_dim1_dp_op_CI_CI
		.amdhsa_group_segment_fixed_size 20160
		.amdhsa_private_segment_fixed_size 0
		.amdhsa_kernarg_size 104
		.amdhsa_user_sgpr_count 6
		.amdhsa_user_sgpr_private_segment_buffer 1
		.amdhsa_user_sgpr_dispatch_ptr 0
		.amdhsa_user_sgpr_queue_ptr 0
		.amdhsa_user_sgpr_kernarg_segment_ptr 1
		.amdhsa_user_sgpr_dispatch_id 0
		.amdhsa_user_sgpr_flat_scratch_init 0
		.amdhsa_user_sgpr_private_segment_size 0
		.amdhsa_uses_dynamic_stack 0
		.amdhsa_system_sgpr_private_segment_wavefront_offset 0
		.amdhsa_system_sgpr_workgroup_id_x 1
		.amdhsa_system_sgpr_workgroup_id_y 0
		.amdhsa_system_sgpr_workgroup_id_z 0
		.amdhsa_system_sgpr_workgroup_info 0
		.amdhsa_system_vgpr_workitem_id 0
		.amdhsa_next_free_vgpr 110
		.amdhsa_next_free_sgpr 24
		.amdhsa_reserve_vcc 1
		.amdhsa_reserve_flat_scratch 0
		.amdhsa_float_round_mode_32 0
		.amdhsa_float_round_mode_16_64 0
		.amdhsa_float_denorm_mode_32 3
		.amdhsa_float_denorm_mode_16_64 3
		.amdhsa_dx10_clamp 1
		.amdhsa_ieee_mode 1
		.amdhsa_fp16_overflow 0
		.amdhsa_exception_fp_ieee_invalid_op 0
		.amdhsa_exception_fp_denorm_src 0
		.amdhsa_exception_fp_ieee_div_zero 0
		.amdhsa_exception_fp_ieee_overflow 0
		.amdhsa_exception_fp_ieee_underflow 0
		.amdhsa_exception_fp_ieee_inexact 0
		.amdhsa_exception_int_div_zero 0
	.end_amdhsa_kernel
	.text
.Lfunc_end0:
	.size	bluestein_single_back_len35_dim1_dp_op_CI_CI, .Lfunc_end0-bluestein_single_back_len35_dim1_dp_op_CI_CI
                                        ; -- End function
	.section	.AMDGPU.csdata,"",@progbits
; Kernel info:
; codeLenInByte = 5116
; NumSgprs: 28
; NumVgprs: 110
; ScratchSize: 0
; MemoryBound: 0
; FloatMode: 240
; IeeeMode: 1
; LDSByteSize: 20160 bytes/workgroup (compile time only)
; SGPRBlocks: 3
; VGPRBlocks: 27
; NumSGPRsForWavesPerEU: 28
; NumVGPRsForWavesPerEU: 110
; Occupancy: 2
; WaveLimiterHint : 1
; COMPUTE_PGM_RSRC2:SCRATCH_EN: 0
; COMPUTE_PGM_RSRC2:USER_SGPR: 6
; COMPUTE_PGM_RSRC2:TRAP_HANDLER: 0
; COMPUTE_PGM_RSRC2:TGID_X_EN: 1
; COMPUTE_PGM_RSRC2:TGID_Y_EN: 0
; COMPUTE_PGM_RSRC2:TGID_Z_EN: 0
; COMPUTE_PGM_RSRC2:TIDIG_COMP_CNT: 0
	.type	__hip_cuid_718541de2f847256,@object ; @__hip_cuid_718541de2f847256
	.section	.bss,"aw",@nobits
	.globl	__hip_cuid_718541de2f847256
__hip_cuid_718541de2f847256:
	.byte	0                               ; 0x0
	.size	__hip_cuid_718541de2f847256, 1

	.ident	"AMD clang version 19.0.0git (https://github.com/RadeonOpenCompute/llvm-project roc-6.4.0 25133 c7fe45cf4b819c5991fe208aaa96edf142730f1d)"
	.section	".note.GNU-stack","",@progbits
	.addrsig
	.addrsig_sym __hip_cuid_718541de2f847256
	.amdgpu_metadata
---
amdhsa.kernels:
  - .args:
      - .actual_access:  read_only
        .address_space:  global
        .offset:         0
        .size:           8
        .value_kind:     global_buffer
      - .actual_access:  read_only
        .address_space:  global
        .offset:         8
        .size:           8
        .value_kind:     global_buffer
      - .actual_access:  read_only
        .address_space:  global
        .offset:         16
        .size:           8
        .value_kind:     global_buffer
      - .actual_access:  read_only
        .address_space:  global
        .offset:         24
        .size:           8
        .value_kind:     global_buffer
      - .actual_access:  read_only
        .address_space:  global
        .offset:         32
        .size:           8
        .value_kind:     global_buffer
      - .offset:         40
        .size:           8
        .value_kind:     by_value
      - .address_space:  global
        .offset:         48
        .size:           8
        .value_kind:     global_buffer
      - .address_space:  global
        .offset:         56
        .size:           8
        .value_kind:     global_buffer
      - .address_space:  global
        .offset:         64
        .size:           8
        .value_kind:     global_buffer
      - .address_space:  global
        .offset:         72
        .size:           8
        .value_kind:     global_buffer
      - .offset:         80
        .size:           4
        .value_kind:     by_value
      - .address_space:  global
        .offset:         88
        .size:           8
        .value_kind:     global_buffer
      - .address_space:  global
        .offset:         96
        .size:           8
        .value_kind:     global_buffer
    .group_segment_fixed_size: 20160
    .kernarg_segment_align: 8
    .kernarg_segment_size: 104
    .language:       OpenCL C
    .language_version:
      - 2
      - 0
    .max_flat_workgroup_size: 252
    .name:           bluestein_single_back_len35_dim1_dp_op_CI_CI
    .private_segment_fixed_size: 0
    .sgpr_count:     28
    .sgpr_spill_count: 0
    .symbol:         bluestein_single_back_len35_dim1_dp_op_CI_CI.kd
    .uniform_work_group_size: 1
    .uses_dynamic_stack: false
    .vgpr_count:     110
    .vgpr_spill_count: 0
    .wavefront_size: 64
amdhsa.target:   amdgcn-amd-amdhsa--gfx906
amdhsa.version:
  - 1
  - 2
...

	.end_amdgpu_metadata
